;; amdgpu-corpus repo=ROCm/rocFFT kind=compiled arch=gfx1030 opt=O3
	.text
	.amdgcn_target "amdgcn-amd-amdhsa--gfx1030"
	.amdhsa_code_object_version 6
	.protected	bluestein_single_back_len420_dim1_sp_op_CI_CI ; -- Begin function bluestein_single_back_len420_dim1_sp_op_CI_CI
	.globl	bluestein_single_back_len420_dim1_sp_op_CI_CI
	.p2align	8
	.type	bluestein_single_back_len420_dim1_sp_op_CI_CI,@function
bluestein_single_back_len420_dim1_sp_op_CI_CI: ; @bluestein_single_back_len420_dim1_sp_op_CI_CI
; %bb.0:
	s_load_dwordx4 s[0:3], s[4:5], 0x28
	v_mul_u32_u24_e32 v1, 0x445, v0
	v_mov_b32_e32 v59, 0
	v_lshrrev_b32_e32 v1, 16, v1
	v_add_nc_u32_e32 v58, s6, v1
	s_waitcnt lgkmcnt(0)
	v_cmp_gt_u64_e32 vcc_lo, s[0:1], v[58:59]
	s_and_saveexec_b32 s0, vcc_lo
	s_cbranch_execz .LBB0_23
; %bb.1:
	s_clause 0x1
	s_load_dwordx2 s[14:15], s[4:5], 0x0
	s_load_dwordx2 s[12:13], s[4:5], 0x38
	v_mul_lo_u16 v1, v1, 60
	v_sub_nc_u16 v0, v0, v1
	v_and_b32_e32 v64, 0xffff, v0
	v_cmp_gt_u16_e32 vcc_lo, 42, v0
	v_lshlrev_b32_e32 v63, 3, v64
	s_and_saveexec_b32 s1, vcc_lo
	s_cbranch_execz .LBB0_3
; %bb.2:
	s_load_dwordx2 s[6:7], s[4:5], 0x18
	s_waitcnt lgkmcnt(0)
	v_add_co_u32 v18, s0, s14, v63
	v_add_co_ci_u32_e64 v19, null, s15, 0, s0
	v_add_nc_u32_e32 v42, 0x400, v63
	s_load_dwordx4 s[8:11], s[6:7], 0x0
	s_waitcnt lgkmcnt(0)
	v_mad_u64_u32 v[0:1], null, s10, v58, 0
	v_mad_u64_u32 v[2:3], null, s8, v64, 0
	s_mul_i32 s6, s9, 0x150
	s_mul_hi_u32 s7, s8, 0x150
	s_add_i32 s7, s7, s6
	v_mad_u64_u32 v[4:5], null, s11, v58, v[1:2]
	v_mad_u64_u32 v[5:6], null, s9, v64, v[3:4]
	v_mov_b32_e32 v1, v4
	s_clause 0x3
	global_load_dwordx2 v[6:7], v63, s[14:15]
	global_load_dwordx2 v[8:9], v63, s[14:15] offset:336
	global_load_dwordx2 v[10:11], v63, s[14:15] offset:672
	;; [unrolled: 1-line block ×3, first 2 shown]
	v_lshlrev_b64 v[0:1], 3, v[0:1]
	v_mov_b32_e32 v3, v5
	s_clause 0x2
	global_load_dwordx2 v[4:5], v63, s[14:15] offset:1344
	global_load_dwordx2 v[14:15], v63, s[14:15] offset:1680
	;; [unrolled: 1-line block ×3, first 2 shown]
	v_add_co_u32 v0, s0, s2, v0
	v_lshlrev_b64 v[2:3], 3, v[2:3]
	v_add_co_ci_u32_e64 v1, s0, s3, v1, s0
	s_mul_i32 s2, s8, 0x150
	v_add_co_u32 v0, s0, v0, v2
	v_add_co_ci_u32_e64 v1, s0, v1, v3, s0
	v_add_co_u32 v2, s0, v0, s2
	v_add_co_ci_u32_e64 v3, s0, s7, v1, s0
	;; [unrolled: 2-line block ×4, first 2 shown]
	global_load_dwordx2 v[0:1], v[0:1], off
	v_add_co_u32 v24, s0, v20, s2
	v_add_co_ci_u32_e64 v25, s0, s7, v21, s0
	global_load_dwordx2 v[22:23], v[18:19], off offset:304
	v_add_co_u32 v26, s0, v24, s2
	v_add_co_ci_u32_e64 v27, s0, s7, v25, s0
	s_clause 0x2
	global_load_dwordx2 v[2:3], v[2:3], off
	global_load_dwordx2 v[20:21], v[20:21], off
	;; [unrolled: 1-line block ×3, first 2 shown]
	v_add_co_u32 v28, s0, v26, s2
	v_add_co_ci_u32_e64 v29, s0, s7, v27, s0
	global_load_dwordx2 v[26:27], v[26:27], off
	v_add_co_u32 v30, s0, v28, s2
	v_add_co_ci_u32_e64 v31, s0, s7, v29, s0
	global_load_dwordx2 v[28:29], v[28:29], off
	;; [unrolled: 3-line block ×5, first 2 shown]
	s_clause 0x1
	global_load_dwordx2 v[38:39], v[18:19], off offset:640
	global_load_dwordx2 v[18:19], v[18:19], off offset:976
	global_load_dwordx2 v[36:37], v[36:37], off
	s_waitcnt vmcnt(12)
	v_mul_f32_e32 v40, v1, v7
	v_mul_f32_e32 v41, v0, v7
	v_fmac_f32_e32 v40, v0, v6
	v_fma_f32 v41, v1, v6, -v41
	s_waitcnt vmcnt(10)
	v_mul_f32_e32 v7, v3, v9
	v_mul_f32_e32 v9, v2, v9
	s_waitcnt vmcnt(9)
	v_mul_f32_e32 v0, v21, v11
	v_mul_f32_e32 v1, v20, v11
	v_fmac_f32_e32 v7, v2, v8
	v_fma_f32 v8, v3, v8, -v9
	s_waitcnt vmcnt(7)
	v_mul_f32_e32 v9, v27, v5
	v_mul_f32_e32 v6, v26, v5
	;; [unrolled: 1-line block ×4, first 2 shown]
	v_fmac_f32_e32 v0, v20, v10
	v_fma_f32 v1, v21, v10, -v1
	v_fmac_f32_e32 v9, v26, v4
	v_fma_f32 v10, v27, v4, -v6
	s_waitcnt vmcnt(6)
	v_mul_f32_e32 v4, v28, v15
	v_fmac_f32_e32 v2, v24, v12
	v_fma_f32 v3, v25, v12, -v3
	s_waitcnt vmcnt(5)
	v_mul_f32_e32 v11, v31, v17
	v_mul_f32_e32 v12, v30, v17
	;; [unrolled: 1-line block ×3, first 2 shown]
	v_fma_f32 v6, v29, v14, -v4
	s_waitcnt vmcnt(4)
	v_mul_f32_e32 v13, v33, v23
	v_mul_f32_e32 v4, v32, v23
	v_fmac_f32_e32 v11, v30, v16
	v_fma_f32 v12, v31, v16, -v12
	s_waitcnt vmcnt(2)
	v_mul_f32_e32 v15, v35, v39
	v_mul_f32_e32 v16, v34, v39
	s_waitcnt vmcnt(0)
	v_mul_f32_e32 v17, v37, v19
	v_mul_f32_e32 v19, v36, v19
	v_fmac_f32_e32 v5, v28, v14
	v_fmac_f32_e32 v13, v32, v22
	v_fma_f32 v14, v33, v22, -v4
	v_fmac_f32_e32 v15, v34, v38
	v_fma_f32 v16, v35, v38, -v16
	;; [unrolled: 2-line block ×3, first 2 shown]
	v_add_nc_u32_e32 v4, 0x800, v63
	ds_write2_b64 v63, v[40:41], v[7:8] offset1:42
	ds_write2_b64 v63, v[0:1], v[2:3] offset0:84 offset1:126
	ds_write2_b64 v63, v[9:10], v[5:6] offset0:168 offset1:210
	;; [unrolled: 1-line block ×4, first 2 shown]
.LBB0_3:
	s_or_b32 exec_lo, exec_lo, s1
	s_clause 0x1
	s_load_dwordx2 s[0:1], s[4:5], 0x20
	s_load_dwordx2 s[2:3], s[4:5], 0x8
	s_waitcnt lgkmcnt(0)
	s_barrier
	buffer_gl0_inv
                                        ; implicit-def: $vgpr14
                                        ; implicit-def: $vgpr10
                                        ; implicit-def: $vgpr0
                                        ; implicit-def: $vgpr4
                                        ; implicit-def: $vgpr18
	s_and_saveexec_b32 s4, vcc_lo
	s_cbranch_execz .LBB0_5
; %bb.4:
	v_add_nc_u32_e32 v0, 0x400, v63
	v_add_nc_u32_e32 v4, 0x800, v63
	ds_read2_b64 v[16:19], v63 offset1:42
	ds_read2_b64 v[12:15], v63 offset0:84 offset1:126
	ds_read2_b64 v[8:11], v63 offset0:168 offset1:210
	;; [unrolled: 1-line block ×4, first 2 shown]
.LBB0_5:
	s_or_b32 exec_lo, exec_lo, s4
	s_waitcnt lgkmcnt(0)
	v_add_f32_e32 v21, v4, v12
	v_sub_f32_e32 v28, v9, v1
	v_sub_f32_e32 v22, v12, v8
	;; [unrolled: 1-line block ×4, first 2 shown]
	v_fma_f32 v21, -0.5, v21, v16
	v_sub_f32_e32 v26, v0, v4
	v_add_f32_e32 v34, v10, v2
	v_sub_f32_e32 v27, v13, v5
	v_add_f32_e32 v29, v24, v22
	v_fmamk_f32 v22, v28, 0xbf737871, v21
	v_fmac_f32_e32 v21, 0x3f737871, v28
	v_add_f32_e32 v26, v26, v25
	v_add_f32_e32 v25, v5, v13
	v_sub_f32_e32 v32, v13, v9
	v_sub_f32_e32 v33, v5, v1
	v_fma_f32 v40, -0.5, v34, v18
	v_sub_f32_e32 v34, v14, v10
	v_sub_f32_e32 v35, v6, v2
	v_fmac_f32_e32 v22, 0x3f167918, v27
	v_fmac_f32_e32 v21, 0xbf167918, v27
	v_sub_f32_e32 v38, v8, v0
	v_fma_f32 v25, -0.5, v25, v17
	v_add_f32_e32 v39, v33, v32
	v_sub_f32_e32 v32, v9, v13
	v_sub_f32_e32 v33, v1, v5
	v_add_f32_e32 v42, v34, v35
	v_add_f32_e32 v35, v15, v7
	v_sub_f32_e32 v36, v10, v14
	v_sub_f32_e32 v37, v2, v6
	;; [unrolled: 1-line block ×3, first 2 shown]
	v_fmac_f32_e32 v22, 0x3e9e377a, v26
	v_fmac_f32_e32 v21, 0x3e9e377a, v26
	v_fmamk_f32 v26, v38, 0x3f737871, v25
	v_fmac_f32_e32 v25, 0xbf737871, v38
	v_add_f32_e32 v32, v33, v32
	v_add_f32_e32 v33, v14, v6
	v_sub_f32_e32 v50, v10, v2
	v_fma_f32 v35, -0.5, v35, v19
	v_add_f32_e32 v36, v36, v37
	v_add_f32_e32 v37, v11, v3
	v_fmac_f32_e32 v26, 0xbf167918, v31
	v_fmac_f32_e32 v25, 0x3f167918, v31
	v_sub_f32_e32 v45, v15, v7
	v_sub_f32_e32 v44, v11, v3
	v_fma_f32 v33, -0.5, v33, v18
	v_sub_f32_e32 v52, v14, v6
	v_fmamk_f32 v48, v50, 0x3f737871, v35
	v_sub_f32_e32 v41, v11, v15
	v_sub_f32_e32 v43, v3, v7
	v_fma_f32 v51, -0.5, v37, v19
	v_add_f32_e32 v20, v0, v8
	v_add_f32_e32 v30, v1, v9
	v_fmac_f32_e32 v26, 0x3e9e377a, v32
	v_fmac_f32_e32 v25, 0x3e9e377a, v32
	v_fmamk_f32 v32, v45, 0xbf737871, v40
	v_fmamk_f32 v34, v44, 0xbf737871, v33
	v_fmac_f32_e32 v33, 0x3f737871, v44
	v_fmac_f32_e32 v48, 0xbf167918, v52
	v_add_f32_e32 v37, v41, v43
	v_sub_f32_e32 v41, v15, v11
	v_sub_f32_e32 v43, v7, v3
	v_fmamk_f32 v49, v52, 0x3f737871, v51
	v_fmac_f32_e32 v35, 0xbf737871, v50
	v_fma_f32 v23, -0.5, v20, v16
	v_fma_f32 v30, -0.5, v30, v17
	v_fmac_f32_e32 v32, 0xbf167918, v44
	v_fmac_f32_e32 v34, 0x3f167918, v45
	;; [unrolled: 1-line block ×4, first 2 shown]
	v_add_f32_e32 v53, v41, v43
	v_fmac_f32_e32 v49, 0x3f167918, v50
	v_fmac_f32_e32 v35, 0x3f167918, v52
	v_fmamk_f32 v20, v27, 0xbf737871, v23
	v_fmamk_f32 v24, v31, 0x3f737871, v30
	v_fmac_f32_e32 v34, 0x3e9e377a, v36
	v_mul_f32_e32 v41, 0x3f737871, v48
	v_fmac_f32_e32 v33, 0x3e9e377a, v36
	v_fmac_f32_e32 v32, 0x3e9e377a, v42
	;; [unrolled: 1-line block ×7, first 2 shown]
	v_mul_f32_e32 v36, 0x3e9e377a, v33
	v_mul_f32_e32 v37, 0x3f4f1bbd, v32
	;; [unrolled: 1-line block ×5, first 2 shown]
	v_fmac_f32_e32 v20, 0x3e9e377a, v29
	v_fmac_f32_e32 v24, 0x3e9e377a, v39
	v_fma_f32 v46, 0x3f737871, v35, -v36
	v_fma_f32 v43, 0x3f167918, v49, -v37
	v_fmac_f32_e32 v47, 0x3e9e377a, v48
	v_fma_f32 v48, 0xbf737871, v33, -v34
	v_fma_f32 v49, 0xbf167918, v32, -v54
	v_sub_f32_e32 v32, v22, v41
	v_sub_f32_e32 v34, v21, v46
	;; [unrolled: 1-line block ×6, first 2 shown]
	v_mul_lo_u16 v65, v64, 10
	s_barrier
	buffer_gl0_inv
	s_and_saveexec_b32 s4, vcc_lo
	s_cbranch_execz .LBB0_7
; %bb.6:
	v_mul_f32_e32 v45, 0x3f737871, v45
	v_mul_f32_e32 v31, 0x3f737871, v31
	;; [unrolled: 1-line block ×5, first 2 shown]
	v_add_f32_e32 v40, v45, v40
	v_mul_f32_e32 v45, 0x3f167918, v50
	v_sub_f32_e32 v30, v30, v31
	v_sub_f32_e32 v31, v51, v52
	v_mul_f32_e32 v42, 0x3e9e377a, v42
	v_add_f32_e32 v40, v44, v40
	v_add_f32_e32 v13, v13, v17
	v_mul_f32_e32 v27, 0x3f737871, v27
	v_mul_f32_e32 v39, 0x3e9e377a, v39
	;; [unrolled: 1-line block ×3, first 2 shown]
	v_sub_f32_e32 v30, v30, v38
	v_sub_f32_e32 v31, v31, v45
	v_add_f32_e32 v38, v42, v40
	v_add_f32_e32 v15, v15, v19
	;; [unrolled: 1-line block ×5, first 2 shown]
	v_mul_f32_e32 v28, 0x3f167918, v28
	v_add_f32_e32 v17, v39, v30
	v_add_f32_e32 v30, v44, v31
	v_mul_f32_e32 v19, 0x3f167918, v38
	v_add_f32_e32 v11, v11, v15
	v_add_f32_e32 v1, v1, v9
	v_add_f32_e32 v8, v8, v12
	v_add_f32_e32 v9, v10, v13
	v_add_f32_e32 v10, v27, v23
	v_mul_f32_e32 v29, 0x3e9e377a, v29
	v_fma_f32 v14, 0x3f4f1bbd, v30, -v19
	v_add_f32_e32 v3, v3, v11
	v_add_f32_e32 v12, v5, v1
	;; [unrolled: 1-line block ×5, first 2 shown]
	v_mul_f32_e32 v13, 0x3f167918, v30
	v_add_f32_e32 v8, v7, v3
	v_add_f32_e32 v0, v4, v0
	;; [unrolled: 1-line block ×3, first 2 shown]
	v_sub_f32_e32 v31, v17, v14
	v_add_f32_e32 v15, v29, v2
	v_fmac_f32_e32 v13, 0x3f4f1bbd, v38
	v_add_f32_e32 v11, v17, v14
	v_mov_b32_e32 v14, 3
	v_sub_f32_e32 v3, v12, v8
	v_add_f32_e32 v9, v8, v12
	v_add_f32_e32 v10, v15, v13
	;; [unrolled: 1-line block ×3, first 2 shown]
	v_lshlrev_b32_sdwa v12, v14, v65 dst_sel:DWORD dst_unused:UNUSED_PAD src0_sel:DWORD src1_sel:WORD_0
	v_sub_f32_e32 v2, v0, v4
	v_add_f32_e32 v7, v25, v48
	v_add_f32_e32 v5, v26, v47
	;; [unrolled: 1-line block ×6, first 2 shown]
	v_sub_f32_e32 v30, v15, v13
	ds_write_b128 v12, v[8:11]
	ds_write_b128 v12, v[4:7] offset:16
	ds_write_b128 v12, v[0:3] offset:32
	;; [unrolled: 1-line block ×4, first 2 shown]
.LBB0_7:
	s_or_b32 exec_lo, exec_lo, s4
	v_and_b32_e32 v0, 0xff, v64
	s_load_dwordx4 s[4:7], s[0:1], 0x0
	s_waitcnt lgkmcnt(0)
	s_barrier
	buffer_gl0_inv
	v_mul_lo_u16 v0, 0xcd, v0
	v_add_nc_u32_e32 v8, 0x400, v63
	v_mov_b32_e32 v29, 0x46
	v_add_nc_u32_e32 v54, 0x800, v63
	v_cmp_gt_u16_e64 s0, 10, v64
	v_lshrrev_b16 v15, 11, v0
	v_mul_lo_u16 v0, v15, 10
	v_mul_u32_u24_sdwa v15, v15, v29 dst_sel:DWORD dst_unused:UNUSED_PAD src0_sel:WORD_0 src1_sel:DWORD
	v_sub_nc_u16 v0, v64, v0
	v_and_b32_e32 v28, 0xff, v0
	v_mul_u32_u24_e32 v0, 6, v28
	v_add_lshl_u32 v66, v15, v28, 3
	v_lshlrev_b32_e32 v0, 3, v0
	s_clause 0x2
	global_load_dwordx4 v[16:19], v0, s[2:3]
	global_load_dwordx4 v[4:7], v0, s[2:3] offset:16
	global_load_dwordx4 v[0:3], v0, s[2:3] offset:32
	ds_read2_b64 v[9:12], v63 offset1:60
	ds_read2_b64 v[20:23], v63 offset0:120 offset1:180
	ds_read2_b64 v[24:27], v8 offset0:112 offset1:172
	ds_read_b64 v[13:14], v63 offset:2880
	s_waitcnt vmcnt(0) lgkmcnt(0)
	s_barrier
	buffer_gl0_inv
	v_mul_f32_e32 v15, v12, v17
	v_mul_f32_e32 v28, v11, v17
	;; [unrolled: 1-line block ×12, first 2 shown]
	v_fma_f32 v11, v11, v16, -v15
	v_fmac_f32_e32 v28, v12, v16
	v_fma_f32 v12, v20, v18, -v29
	v_fmac_f32_e32 v30, v21, v18
	;; [unrolled: 2-line block ×6, first 2 shown]
	v_add_f32_e32 v21, v11, v13
	v_add_f32_e32 v22, v28, v44
	;; [unrolled: 1-line block ×4, first 2 shown]
	v_sub_f32_e32 v11, v11, v13
	v_sub_f32_e32 v13, v28, v44
	;; [unrolled: 1-line block ×4, first 2 shown]
	v_add_f32_e32 v25, v15, v20
	v_add_f32_e32 v26, v38, v40
	v_sub_f32_e32 v15, v20, v15
	v_sub_f32_e32 v20, v40, v38
	v_add_f32_e32 v27, v23, v21
	v_add_f32_e32 v28, v24, v22
	v_sub_f32_e32 v29, v23, v21
	v_sub_f32_e32 v30, v24, v22
	;; [unrolled: 1-line block ×6, first 2 shown]
	v_add_f32_e32 v31, v15, v12
	v_add_f32_e32 v38, v20, v14
	v_sub_f32_e32 v39, v15, v12
	v_sub_f32_e32 v40, v20, v14
	v_add_f32_e32 v25, v25, v27
	v_add_f32_e32 v26, v26, v28
	v_sub_f32_e32 v12, v12, v11
	v_sub_f32_e32 v14, v14, v13
	;; [unrolled: 1-line block ×4, first 2 shown]
	v_add_f32_e32 v11, v31, v11
	v_add_f32_e32 v13, v38, v13
	v_mul_f32_e32 v21, 0x3f4a47b2, v21
	v_mul_f32_e32 v22, 0x3f4a47b2, v22
	v_mul_f32_e32 v27, 0x3d64c772, v23
	v_mul_f32_e32 v28, 0x3d64c772, v24
	v_mul_f32_e32 v31, 0xbf08b237, v39
	v_mul_f32_e32 v38, 0xbf08b237, v40
	v_add_f32_e32 v9, v9, v25
	v_add_f32_e32 v10, v10, v26
	v_mul_f32_e32 v39, 0x3f5ff5aa, v12
	v_mul_f32_e32 v40, 0x3f5ff5aa, v14
	v_fmamk_f32 v23, v23, 0x3d64c772, v21
	v_fmamk_f32 v24, v24, 0x3d64c772, v22
	v_fma_f32 v27, 0x3f3bfb3b, v29, -v27
	v_fma_f32 v28, 0x3f3bfb3b, v30, -v28
	;; [unrolled: 1-line block ×4, first 2 shown]
	v_fmamk_f32 v29, v15, 0x3eae86e6, v31
	v_fmamk_f32 v30, v20, 0x3eae86e6, v38
	v_fma_f32 v31, 0x3f5ff5aa, v12, -v31
	v_fma_f32 v38, 0x3f5ff5aa, v14, -v38
	v_fmamk_f32 v12, v25, 0xbf955555, v9
	v_fmamk_f32 v14, v26, 0xbf955555, v10
	v_fma_f32 v15, 0xbeae86e6, v15, -v39
	v_fma_f32 v39, 0xbeae86e6, v20, -v40
	v_fmac_f32_e32 v29, 0x3ee1c552, v11
	v_fmac_f32_e32 v30, 0x3ee1c552, v13
	v_add_f32_e32 v26, v23, v12
	v_add_f32_e32 v40, v24, v14
	v_fmac_f32_e32 v31, 0x3ee1c552, v11
	v_fmac_f32_e32 v38, 0x3ee1c552, v13
	;; [unrolled: 1-line block ×4, first 2 shown]
	v_add_f32_e32 v23, v27, v12
	v_add_f32_e32 v24, v21, v12
	;; [unrolled: 1-line block ×5, first 2 shown]
	v_sub_f32_e32 v12, v40, v29
	v_add_f32_e32 v13, v39, v24
	v_sub_f32_e32 v14, v25, v15
	v_sub_f32_e32 v20, v23, v38
	v_add_f32_e32 v21, v31, v27
	v_add_f32_e32 v22, v38, v23
	v_sub_f32_e32 v23, v27, v31
	v_sub_f32_e32 v24, v24, v39
	v_add_f32_e32 v25, v15, v25
	v_sub_f32_e32 v30, v26, v30
	v_add_f32_e32 v31, v29, v40
	ds_write2_b64 v66, v[9:10], v[11:12] offset1:10
	ds_write2_b64 v66, v[13:14], v[20:21] offset0:20 offset1:30
	ds_write2_b64 v66, v[22:23], v[24:25] offset0:40 offset1:50
	ds_write_b64 v66, v[30:31] offset:480
	s_waitcnt lgkmcnt(0)
	s_barrier
	buffer_gl0_inv
	ds_read2_b64 v[38:41], v63 offset1:70
	ds_read2_b64 v[50:53], v63 offset0:140 offset1:210
	ds_read2_b64 v[46:49], v54 offset0:24 offset1:94
                                        ; implicit-def: $vgpr42
	s_and_saveexec_b32 s1, s0
	s_cbranch_execz .LBB0_9
; %bb.8:
	ds_read2_b64 v[30:33], v63 offset0:60 offset1:130
	ds_read2_b64 v[34:37], v8 offset0:72 offset1:142
	;; [unrolled: 1-line block ×3, first 2 shown]
.LBB0_9:
	s_or_b32 exec_lo, exec_lo, s1
	v_mad_u64_u32 v[8:9], null, v64, 40, s[2:3]
	s_clause 0x2
	global_load_dwordx4 v[24:27], v[8:9], off offset:480
	global_load_dwordx4 v[20:23], v[8:9], off offset:496
	global_load_dwordx2 v[61:62], v[8:9], off offset:512
	v_add_nc_u32_e32 v8, 60, v64
	v_add_nc_u32_e32 v9, -10, v64
	v_cndmask_b32_e64 v8, v9, v8, s0
	v_mul_i32_i24_e32 v9, 40, v8
	v_mul_hi_i32_i24_e32 v8, 40, v8
	v_add_co_u32 v28, s1, s2, v9
	v_add_co_ci_u32_e64 v29, s1, s3, v8, s1
	s_clause 0x2
	global_load_dwordx4 v[12:15], v[28:29], off offset:480
	global_load_dwordx4 v[8:11], v[28:29], off offset:496
	global_load_dwordx2 v[59:60], v[28:29], off offset:512
	s_waitcnt vmcnt(5) lgkmcnt(2)
	v_mul_f32_e32 v28, v41, v25
	v_mul_f32_e32 v29, v40, v25
	s_waitcnt lgkmcnt(1)
	v_mul_f32_e32 v55, v51, v27
	v_mul_f32_e32 v56, v50, v27
	s_waitcnt vmcnt(4)
	v_mul_f32_e32 v57, v53, v21
	v_mul_f32_e32 v67, v52, v21
	s_waitcnt lgkmcnt(0)
	v_mul_f32_e32 v68, v47, v23
	v_mul_f32_e32 v69, v46, v23
	s_waitcnt vmcnt(3)
	v_mul_f32_e32 v70, v49, v62
	v_mul_f32_e32 v71, v48, v62
	v_fma_f32 v28, v40, v24, -v28
	v_fmac_f32_e32 v29, v41, v24
	v_fma_f32 v40, v50, v26, -v55
	v_fmac_f32_e32 v56, v51, v26
	;; [unrolled: 2-line block ×5, first 2 shown]
	v_add_f32_e32 v51, v39, v56
	v_add_f32_e32 v49, v40, v46
	v_sub_f32_e32 v50, v56, v69
	v_add_f32_e32 v52, v56, v69
	v_add_f32_e32 v55, v41, v47
	v_sub_f32_e32 v56, v67, v71
	v_add_f32_e32 v57, v29, v67
	v_add_f32_e32 v67, v67, v71
	s_waitcnt vmcnt(2)
	v_mul_f32_e32 v72, v35, v15
	v_mul_f32_e32 v73, v34, v15
	s_waitcnt vmcnt(1)
	v_mul_f32_e32 v74, v37, v9
	v_mul_f32_e32 v75, v36, v9
	;; [unrolled: 1-line block ×3, first 2 shown]
	s_waitcnt vmcnt(0)
	v_mul_f32_e32 v78, v45, v60
	v_mul_f32_e32 v79, v44, v60
	v_add_f32_e32 v48, v38, v40
	v_sub_f32_e32 v40, v40, v46
	v_add_f32_e32 v53, v28, v41
	v_sub_f32_e32 v41, v41, v47
	v_mul_f32_e32 v68, v33, v13
	v_mul_f32_e32 v70, v32, v13
	;; [unrolled: 1-line block ×3, first 2 shown]
	v_fma_f32 v80, -0.5, v49, v38
	v_fma_f32 v81, -0.5, v52, v39
	v_fmac_f32_e32 v28, -0.5, v55
	v_fmac_f32_e32 v29, -0.5, v67
	v_fma_f32 v34, v34, v14, -v72
	v_fmac_f32_e32 v73, v35, v14
	v_fma_f32 v35, v36, v8, -v74
	v_fmac_f32_e32 v75, v37, v8
	v_fma_f32 v36, v42, v10, -v76
	v_fma_f32 v37, v44, v59, -v78
	v_fmac_f32_e32 v79, v45, v59
	v_add_f32_e32 v38, v48, v46
	v_add_f32_e32 v39, v51, v69
	v_add_f32_e32 v46, v53, v47
	v_add_f32_e32 v47, v57, v71
	v_fma_f32 v53, v32, v12, -v68
	v_fmac_f32_e32 v70, v33, v12
	v_fmac_f32_e32 v77, v43, v10
	v_fmamk_f32 v44, v50, 0x3f5db3d7, v80
	v_fmac_f32_e32 v80, 0xbf5db3d7, v50
	v_fmamk_f32 v45, v40, 0xbf5db3d7, v81
	;; [unrolled: 2-line block ×4, first 2 shown]
	v_fmac_f32_e32 v29, 0x3f5db3d7, v41
	v_add_f32_e32 v43, v34, v36
	v_add_f32_e32 v50, v35, v37
	;; [unrolled: 1-line block ×5, first 2 shown]
	v_sub_f32_e32 v38, v38, v46
	v_sub_f32_e32 v39, v39, v47
	v_add_f32_e32 v41, v30, v34
	v_sub_f32_e32 v46, v73, v77
	v_add_f32_e32 v47, v31, v73
	v_add_f32_e32 v48, v73, v77
	;; [unrolled: 1-line block ×3, first 2 shown]
	v_sub_f32_e32 v51, v75, v79
	v_add_f32_e32 v52, v70, v75
	v_sub_f32_e32 v35, v35, v37
	v_mul_f32_e32 v56, 0x3f5db3d7, v42
	v_mul_f32_e32 v57, -0.5, v28
	v_mul_f32_e32 v68, -0.5, v29
	v_fmac_f32_e32 v30, -0.5, v43
	v_fmac_f32_e32 v53, -0.5, v50
	;; [unrolled: 1-line block ×3, first 2 shown]
	v_sub_f32_e32 v34, v34, v36
	v_mul_f32_e32 v67, 0xbf5db3d7, v40
	v_add_f32_e32 v36, v41, v36
	v_add_f32_e32 v41, v47, v77
	v_fmac_f32_e32 v31, -0.5, v48
	v_add_f32_e32 v37, v49, v37
	v_add_f32_e32 v47, v52, v79
	v_fmac_f32_e32 v56, 0.5, v40
	v_fmac_f32_e32 v57, 0x3f5db3d7, v29
	v_fmac_f32_e32 v68, 0xbf5db3d7, v28
	v_fmamk_f32 v28, v46, 0x3f5db3d7, v30
	v_fmac_f32_e32 v30, 0xbf5db3d7, v46
	v_fmamk_f32 v40, v51, 0x3f5db3d7, v53
	;; [unrolled: 2-line block ×3, first 2 shown]
	v_fmac_f32_e32 v70, 0x3f5db3d7, v35
	v_fmac_f32_e32 v67, 0.5, v42
	v_fmamk_f32 v29, v34, 0xbf5db3d7, v31
	v_fmac_f32_e32 v31, 0x3f5db3d7, v34
	v_add_f32_e32 v42, v36, v37
	v_add_f32_e32 v43, v41, v47
	v_sub_f32_e32 v48, v36, v37
	v_sub_f32_e32 v49, v41, v47
	v_add_f32_e32 v34, v44, v56
	v_add_f32_e32 v36, v80, v57
	v_sub_f32_e32 v50, v44, v56
	v_sub_f32_e32 v52, v80, v57
	v_mul_f32_e32 v41, 0x3f5db3d7, v46
	v_mul_f32_e32 v55, -0.5, v53
	v_mul_f32_e32 v56, 0xbf5db3d7, v40
	v_mul_f32_e32 v57, -0.5, v70
	v_add_f32_e32 v35, v45, v67
	v_fmac_f32_e32 v41, 0.5, v40
	v_fmac_f32_e32 v55, 0x3f5db3d7, v70
	v_fmac_f32_e32 v56, 0.5, v46
	v_fmac_f32_e32 v57, 0xbf5db3d7, v53
	v_sub_f32_e32 v51, v45, v67
	v_add_f32_e32 v37, v81, v68
	v_sub_f32_e32 v53, v81, v68
	v_add_f32_e32 v44, v28, v41
	v_add_f32_e32 v46, v30, v55
	;; [unrolled: 1-line block ×4, first 2 shown]
	v_sub_f32_e32 v28, v28, v41
	v_sub_f32_e32 v30, v30, v55
	;; [unrolled: 1-line block ×4, first 2 shown]
	ds_write2_b64 v63, v[32:33], v[34:35] offset1:70
	ds_write2_b64 v63, v[36:37], v[38:39] offset0:140 offset1:210
	ds_write2_b64 v54, v[50:51], v[52:53] offset0:24 offset1:94
	s_and_saveexec_b32 s1, s0
	s_cbranch_execz .LBB0_11
; %bb.10:
	v_add_nc_u32_e32 v40, 0x400, v63
	v_add_nc_u32_e32 v41, 0x800, v63
	ds_write2_b64 v63, v[42:43], v[44:45] offset0:60 offset1:130
	ds_write2_b64 v40, v[46:47], v[48:49] offset0:72 offset1:142
	;; [unrolled: 1-line block ×3, first 2 shown]
.LBB0_11:
	s_or_b32 exec_lo, exec_lo, s1
	s_waitcnt lgkmcnt(0)
	s_barrier
	buffer_gl0_inv
	s_and_saveexec_b32 s2, vcc_lo
	s_cbranch_execz .LBB0_13
; %bb.12:
	v_add_co_u32 v67, s1, s14, v63
	v_add_co_ci_u32_e64 v68, null, s15, 0, s1
	v_add_co_u32 v40, s1, 0x800, v67
	v_add_co_ci_u32_e64 v41, s1, 0, v68, s1
	v_add_co_u32 v54, s1, 0xd20, v67
	v_add_co_ci_u32_e64 v55, s1, 0, v68, s1
	global_load_dwordx2 v[40:41], v[40:41], off offset:1312
	v_add_co_u32 v56, s1, 0x1000, v67
	s_clause 0x4
	global_load_dwordx2 v[71:72], v[54:55], off offset:336
	global_load_dwordx2 v[73:74], v[54:55], off offset:672
	;; [unrolled: 1-line block ×5, first 2 shown]
	v_add_co_ci_u32_e64 v57, s1, 0, v68, s1
	v_add_co_u32 v67, s1, 0x1800, v67
	v_add_co_ci_u32_e64 v68, s1, 0, v68, s1
	s_clause 0x3
	global_load_dwordx2 v[81:82], v[54:55], off offset:2016
	global_load_dwordx2 v[83:84], v[56:57], off offset:1616
	global_load_dwordx2 v[85:86], v[56:57], off offset:1952
	global_load_dwordx2 v[87:88], v[67:68], off offset:240
	ds_read_b64 v[54:55], v63
	s_waitcnt vmcnt(9) lgkmcnt(0)
	v_mul_f32_e32 v56, v55, v41
	v_mul_f32_e32 v57, v54, v41
	v_fma_f32 v56, v54, v40, -v56
	v_fmac_f32_e32 v57, v55, v40
	ds_write_b64 v63, v[56:57]
	ds_read2_b64 v[54:57], v63 offset0:42 offset1:84
	ds_read2_b64 v[67:70], v63 offset0:126 offset1:168
	s_waitcnt vmcnt(8) lgkmcnt(1)
	v_mul_f32_e32 v40, v55, v72
	v_mul_f32_e32 v41, v54, v72
	s_waitcnt vmcnt(7)
	v_mul_f32_e32 v89, v57, v74
	v_mul_f32_e32 v72, v56, v74
	s_waitcnt vmcnt(6) lgkmcnt(0)
	v_mul_f32_e32 v90, v68, v76
	v_mul_f32_e32 v74, v67, v76
	s_waitcnt vmcnt(5)
	v_mul_f32_e32 v91, v70, v78
	v_mul_f32_e32 v76, v69, v78
	v_fma_f32 v40, v54, v71, -v40
	v_fmac_f32_e32 v41, v55, v71
	v_fma_f32 v71, v56, v73, -v89
	v_fmac_f32_e32 v72, v57, v73
	;; [unrolled: 2-line block ×4, first 2 shown]
	ds_write2_b64 v63, v[40:41], v[71:72] offset0:42 offset1:84
	ds_write2_b64 v63, v[73:74], v[75:76] offset0:126 offset1:168
	ds_read_b64 v[40:41], v63 offset:1680
	v_add_nc_u32_e32 v77, 0x400, v63
	v_add_nc_u32_e32 v78, 0x800, v63
	s_waitcnt vmcnt(4) lgkmcnt(0)
	v_mul_f32_e32 v54, v41, v80
	v_mul_f32_e32 v55, v40, v80
	v_fma_f32 v54, v40, v79, -v54
	v_fmac_f32_e32 v55, v41, v79
	ds_write_b64 v63, v[54:55] offset:1680
	ds_read2_b64 v[54:57], v77 offset0:124 offset1:166
	ds_read2_b64 v[67:70], v78 offset0:80 offset1:122
	s_waitcnt vmcnt(3) lgkmcnt(1)
	v_mul_f32_e32 v40, v55, v82
	v_mul_f32_e32 v41, v54, v82
	s_waitcnt vmcnt(2)
	v_mul_f32_e32 v71, v57, v84
	v_mul_f32_e32 v72, v56, v84
	s_waitcnt vmcnt(1) lgkmcnt(0)
	v_mul_f32_e32 v73, v68, v86
	v_mul_f32_e32 v74, v67, v86
	s_waitcnt vmcnt(0)
	v_mul_f32_e32 v75, v70, v88
	v_mul_f32_e32 v76, v69, v88
	v_fma_f32 v40, v54, v81, -v40
	v_fmac_f32_e32 v41, v55, v81
	v_fma_f32 v71, v56, v83, -v71
	v_fmac_f32_e32 v72, v57, v83
	;; [unrolled: 2-line block ×4, first 2 shown]
	ds_write2_b64 v77, v[40:41], v[71:72] offset0:124 offset1:166
	ds_write2_b64 v78, v[73:74], v[75:76] offset0:80 offset1:122
.LBB0_13:
	s_or_b32 exec_lo, exec_lo, s2
	s_waitcnt lgkmcnt(0)
	s_barrier
	buffer_gl0_inv
	s_and_saveexec_b32 s1, vcc_lo
	s_cbranch_execz .LBB0_15
; %bb.14:
	v_add_nc_u32_e32 v40, 0x400, v63
	v_add_nc_u32_e32 v41, 0x800, v63
	ds_read2_b64 v[32:35], v63 offset1:42
	ds_read2_b64 v[36:39], v63 offset0:84 offset1:126
	ds_read2_b64 v[50:53], v63 offset0:168 offset1:210
	;; [unrolled: 1-line block ×4, first 2 shown]
.LBB0_15:
	s_or_b32 exec_lo, exec_lo, s1
	s_waitcnt lgkmcnt(1)
	v_add_f32_e32 v40, v42, v50
	s_waitcnt lgkmcnt(0)
	v_add_f32_e32 v41, v46, v36
	v_sub_f32_e32 v54, v36, v50
	v_sub_f32_e32 v55, v50, v36
	;; [unrolled: 1-line block ×3, first 2 shown]
	v_fma_f32 v70, -0.5, v40, v32
	v_sub_f32_e32 v40, v46, v42
	v_fma_f32 v68, -0.5, v41, v32
	v_sub_f32_e32 v41, v42, v46
	v_sub_f32_e32 v74, v37, v47
	v_add_f32_e32 v56, v43, v51
	v_add_f32_e32 v76, v40, v54
	v_sub_f32_e32 v54, v37, v51
	v_add_f32_e32 v40, v41, v55
	v_sub_f32_e32 v55, v47, v43
	v_fmamk_f32 v69, v75, 0x3f737871, v68
	v_fmac_f32_e32 v68, 0xbf737871, v75
	v_fma_f32 v77, -0.5, v56, v33
	v_add_f32_e32 v41, v47, v37
	v_add_f32_e32 v80, v55, v54
	;; [unrolled: 1-line block ×3, first 2 shown]
	v_fmac_f32_e32 v69, 0xbf167918, v74
	v_fmac_f32_e32 v68, 0x3f167918, v74
	v_sub_f32_e32 v55, v48, v44
	v_sub_f32_e32 v56, v52, v38
	v_fma_f32 v81, -0.5, v54, v34
	v_sub_f32_e32 v54, v38, v52
	v_sub_f32_e32 v57, v44, v48
	;; [unrolled: 1-line block ×3, first 2 shown]
	v_fma_f32 v72, -0.5, v41, v33
	v_fmac_f32_e32 v69, 0x3e9e377a, v40
	v_fmac_f32_e32 v68, 0x3e9e377a, v40
	v_sub_f32_e32 v40, v51, v37
	v_sub_f32_e32 v41, v43, v47
	v_add_f32_e32 v83, v54, v55
	v_add_f32_e32 v55, v39, v49
	;; [unrolled: 1-line block ×4, first 2 shown]
	v_sub_f32_e32 v78, v36, v46
	v_fmamk_f32 v73, v79, 0xbf737871, v72
	v_fmac_f32_e32 v72, 0x3f737871, v79
	v_add_f32_e32 v40, v41, v40
	v_add_f32_e32 v41, v38, v48
	v_sub_f32_e32 v91, v52, v44
	v_fma_f32 v55, -0.5, v55, v35
	v_sub_f32_e32 v93, v38, v48
	v_fma_f32 v92, -0.5, v57, v35
	v_fmac_f32_e32 v73, 0x3f167918, v78
	v_fmac_f32_e32 v72, 0xbf167918, v78
	v_sub_f32_e32 v87, v39, v49
	v_sub_f32_e32 v84, v53, v45
	v_fma_f32 v41, -0.5, v41, v34
	v_fmamk_f32 v88, v91, 0xbf737871, v55
	v_sub_f32_e32 v82, v53, v39
	v_sub_f32_e32 v85, v45, v49
	v_sub_f32_e32 v57, v39, v53
	v_sub_f32_e32 v86, v49, v45
	v_fmac_f32_e32 v55, 0x3f737871, v91
	v_fmamk_f32 v90, v93, 0xbf737871, v92
	v_fmac_f32_e32 v73, 0x3e9e377a, v40
	v_fmac_f32_e32 v72, 0x3e9e377a, v40
	v_fmamk_f32 v40, v87, 0x3f737871, v81
	v_fmamk_f32 v54, v84, 0x3f737871, v41
	v_fmac_f32_e32 v88, 0x3f167918, v93
	v_add_f32_e32 v85, v82, v85
	v_fmac_f32_e32 v41, 0xbf737871, v84
	v_add_f32_e32 v94, v57, v86
	v_fmac_f32_e32 v55, 0xbf167918, v93
	v_fmac_f32_e32 v90, 0xbf167918, v91
	v_fmamk_f32 v67, v74, 0x3f737871, v70
	v_fmamk_f32 v71, v78, 0xbf737871, v77
	v_fmac_f32_e32 v40, 0x3f167918, v84
	v_fmac_f32_e32 v54, 0xbf167918, v87
	;; [unrolled: 1-line block ×9, first 2 shown]
	v_mul_f32_e32 v82, 0xbf737871, v88
	v_fmac_f32_e32 v40, 0x3e9e377a, v83
	v_fmac_f32_e32 v41, 0x3e9e377a, v56
	v_mul_f32_e32 v86, 0xbf737871, v55
	v_mul_f32_e32 v85, 0xbf167918, v90
	;; [unrolled: 1-line block ×5, first 2 shown]
	v_fmac_f32_e32 v67, 0x3e9e377a, v76
	v_fmac_f32_e32 v71, 0x3e9e377a, v80
	;; [unrolled: 1-line block ×8, first 2 shown]
	v_sub_f32_e32 v40, v69, v82
	v_sub_f32_e32 v54, v68, v86
	;; [unrolled: 1-line block ×6, first 2 shown]
	s_barrier
	buffer_gl0_inv
	s_and_saveexec_b32 s1, vcc_lo
	s_cbranch_execz .LBB0_17
; %bb.16:
	v_mul_f32_e32 v93, 0x3f737871, v93
	v_mul_f32_e32 v78, 0x3f737871, v78
	;; [unrolled: 1-line block ×5, first 2 shown]
	v_add_f32_e32 v92, v93, v92
	v_mul_f32_e32 v84, 0x3f167918, v84
	v_add_f32_e32 v77, v78, v77
	v_sub_f32_e32 v78, v81, v87
	v_mul_f32_e32 v81, 0x3e9e377a, v94
	v_add_f32_e32 v87, v91, v92
	v_add_f32_e32 v33, v37, v33
	v_mul_f32_e32 v74, 0x3f737871, v74
	v_mul_f32_e32 v80, 0x3e9e377a, v80
	;; [unrolled: 1-line block ×3, first 2 shown]
	v_add_f32_e32 v77, v79, v77
	v_sub_f32_e32 v78, v78, v84
	v_add_f32_e32 v79, v81, v87
	v_add_f32_e32 v35, v39, v35
	;; [unrolled: 1-line block ×5, first 2 shown]
	v_mul_f32_e32 v75, 0x3f167918, v75
	v_add_f32_e32 v37, v80, v77
	v_add_f32_e32 v77, v83, v78
	v_mul_f32_e32 v78, 0x3f4f1bbd, v79
	v_add_f32_e32 v35, v53, v35
	v_add_f32_e32 v33, v43, v33
	;; [unrolled: 1-line block ×4, first 2 shown]
	v_sub_f32_e32 v36, v70, v74
	v_mul_f32_e32 v76, 0x3e9e377a, v76
	v_fmac_f32_e32 v78, 0x3f167918, v77
	v_add_f32_e32 v35, v45, v35
	v_add_f32_e32 v38, v47, v33
	;; [unrolled: 1-line block ×4, first 2 shown]
	v_sub_f32_e32 v34, v36, v75
	v_mul_f32_e32 v36, 0x3f167918, v79
	v_add_f32_e32 v42, v49, v35
	v_add_f32_e32 v32, v46, v32
	;; [unrolled: 1-line block ×3, first 2 shown]
	v_sub_f32_e32 v39, v37, v78
	v_add_f32_e32 v50, v76, v34
	v_fma_f32 v36, 0x3f4f1bbd, v77, -v36
	v_add_f32_e32 v49, v37, v78
	v_mov_b32_e32 v37, 3
	v_sub_f32_e32 v34, v32, v46
	v_add_f32_e32 v47, v42, v38
	v_add_f32_e32 v48, v50, v36
	;; [unrolled: 1-line block ×3, first 2 shown]
	v_lshlrev_b32_sdwa v37, v37, v65 dst_sel:DWORD dst_unused:UNUSED_PAD src0_sel:DWORD src1_sel:WORD_0
	v_sub_f32_e32 v35, v38, v42
	v_add_f32_e32 v45, v72, v89
	v_add_f32_e32 v43, v73, v88
	;; [unrolled: 1-line block ×6, first 2 shown]
	v_sub_f32_e32 v38, v50, v36
	ds_write_b128 v37, v[46:49]
	ds_write_b128 v37, v[42:45] offset:16
	ds_write_b128 v37, v[32:35] offset:32
	;; [unrolled: 1-line block ×4, first 2 shown]
.LBB0_17:
	s_or_b32 exec_lo, exec_lo, s1
	v_add_nc_u32_e32 v33, 0x400, v63
	s_waitcnt lgkmcnt(0)
	s_barrier
	buffer_gl0_inv
	ds_read2_b64 v[34:37], v63 offset1:60
	ds_read2_b64 v[42:45], v63 offset0:120 offset1:180
	ds_read_b64 v[38:39], v63 offset:2880
	ds_read2_b64 v[46:49], v33 offset0:112 offset1:172
	s_waitcnt lgkmcnt(0)
	s_barrier
	buffer_gl0_inv
	v_mul_f32_e32 v32, v17, v37
	v_mul_f32_e32 v17, v17, v36
	;; [unrolled: 1-line block ×8, first 2 shown]
	v_fmac_f32_e32 v32, v16, v36
	v_fma_f32 v16, v16, v37, -v17
	v_fmac_f32_e32 v50, v18, v42
	v_fma_f32 v17, v18, v43, -v19
	v_mul_f32_e32 v18, v1, v49
	v_mul_f32_e32 v1, v1, v48
	v_fmac_f32_e32 v51, v4, v44
	v_fma_f32 v4, v4, v45, -v5
	v_mul_f32_e32 v5, v7, v47
	v_mul_f32_e32 v7, v7, v46
	v_fmac_f32_e32 v52, v2, v38
	v_fma_f32 v2, v2, v39, -v3
	v_fmac_f32_e32 v18, v0, v48
	v_fma_f32 v0, v0, v49, -v1
	;; [unrolled: 2-line block ×3, first 2 shown]
	v_add_f32_e32 v1, v32, v52
	v_add_f32_e32 v6, v16, v2
	v_sub_f32_e32 v2, v16, v2
	v_add_f32_e32 v16, v50, v18
	v_add_f32_e32 v19, v17, v0
	v_sub_f32_e32 v7, v32, v52
	v_sub_f32_e32 v18, v50, v18
	;; [unrolled: 1-line block ×3, first 2 shown]
	v_add_f32_e32 v17, v51, v5
	v_add_f32_e32 v32, v4, v3
	v_sub_f32_e32 v5, v5, v51
	v_sub_f32_e32 v3, v3, v4
	v_add_f32_e32 v4, v16, v1
	v_add_f32_e32 v36, v19, v6
	v_sub_f32_e32 v37, v16, v1
	v_sub_f32_e32 v38, v19, v6
	;; [unrolled: 1-line block ×6, first 2 shown]
	v_add_f32_e32 v1, v5, v18
	v_add_f32_e32 v42, v3, v0
	v_sub_f32_e32 v43, v5, v18
	v_sub_f32_e32 v44, v3, v0
	v_add_f32_e32 v4, v17, v4
	v_add_f32_e32 v17, v32, v36
	v_sub_f32_e32 v18, v18, v7
	v_sub_f32_e32 v32, v0, v2
	;; [unrolled: 1-line block ×4, first 2 shown]
	v_add_f32_e32 v7, v1, v7
	v_add_f32_e32 v2, v42, v2
	;; [unrolled: 1-line block ×4, first 2 shown]
	v_mul_f32_e32 v34, 0x3f4a47b2, v39
	v_mul_f32_e32 v6, 0x3f4a47b2, v6
	;; [unrolled: 1-line block ×8, first 2 shown]
	v_fmamk_f32 v4, v4, 0xbf955555, v0
	v_fmamk_f32 v17, v17, 0xbf955555, v1
	;; [unrolled: 1-line block ×4, first 2 shown]
	v_fma_f32 v35, 0x3f3bfb3b, v37, -v35
	v_fma_f32 v36, 0x3f3bfb3b, v38, -v36
	;; [unrolled: 1-line block ×4, first 2 shown]
	v_fmamk_f32 v37, v5, 0xbeae86e6, v39
	v_fmamk_f32 v38, v3, 0xbeae86e6, v42
	v_fma_f32 v18, 0xbf5ff5aa, v18, -v39
	v_fma_f32 v32, 0xbf5ff5aa, v32, -v42
	;; [unrolled: 1-line block ×4, first 2 shown]
	v_add_f32_e32 v43, v16, v4
	v_add_f32_e32 v44, v19, v17
	v_fmac_f32_e32 v37, 0xbee1c552, v7
	v_fmac_f32_e32 v38, 0xbee1c552, v2
	v_add_f32_e32 v16, v35, v4
	v_add_f32_e32 v19, v36, v17
	;; [unrolled: 1-line block ×4, first 2 shown]
	v_fmac_f32_e32 v18, 0xbee1c552, v7
	v_fmac_f32_e32 v42, 0xbee1c552, v2
	;; [unrolled: 1-line block ×4, first 2 shown]
	v_add_f32_e32 v2, v38, v43
	v_sub_f32_e32 v3, v44, v37
	v_add_f32_e32 v4, v42, v34
	v_sub_f32_e32 v5, v35, v39
	v_sub_f32_e32 v6, v16, v32
	v_add_f32_e32 v7, v18, v19
	v_add_f32_e32 v16, v32, v16
	v_sub_f32_e32 v17, v19, v18
	v_sub_f32_e32 v18, v34, v42
	v_add_f32_e32 v19, v39, v35
	v_add_nc_u32_e32 v32, 0x800, v63
	v_sub_f32_e32 v38, v43, v38
	v_add_f32_e32 v39, v37, v44
	ds_write2_b64 v66, v[0:1], v[2:3] offset1:10
	ds_write2_b64 v66, v[4:5], v[6:7] offset0:20 offset1:30
	ds_write2_b64 v66, v[16:17], v[18:19] offset0:40 offset1:50
	ds_write_b64 v66, v[38:39] offset:480
	s_waitcnt lgkmcnt(0)
	s_barrier
	buffer_gl0_inv
	ds_read2_b64 v[0:3], v63 offset1:70
	ds_read2_b64 v[16:19], v63 offset0:140 offset1:210
	ds_read2_b64 v[4:7], v32 offset0:24 offset1:94
	s_and_saveexec_b32 s1, s0
	s_cbranch_execz .LBB0_19
; %bb.18:
	ds_read2_b64 v[38:41], v63 offset0:60 offset1:130
	ds_read2_b64 v[54:57], v33 offset0:72 offset1:142
	;; [unrolled: 1-line block ×3, first 2 shown]
.LBB0_19:
	s_or_b32 exec_lo, exec_lo, s1
	s_waitcnt lgkmcnt(2)
	v_mul_f32_e32 v33, v25, v3
	v_mul_f32_e32 v25, v25, v2
	s_waitcnt lgkmcnt(1)
	v_mul_f32_e32 v34, v27, v17
	v_mul_f32_e32 v27, v27, v16
	v_fmac_f32_e32 v33, v24, v2
	v_fma_f32 v2, v24, v3, -v25
	v_mul_f32_e32 v3, v21, v19
	v_fmac_f32_e32 v34, v26, v16
	s_waitcnt lgkmcnt(0)
	v_mul_f32_e32 v16, v23, v5
	v_mul_f32_e32 v21, v21, v18
	v_fma_f32 v17, v26, v17, -v27
	v_fmac_f32_e32 v3, v20, v18
	v_mul_f32_e32 v18, v23, v4
	v_fmac_f32_e32 v16, v22, v4
	v_mul_f32_e32 v4, v62, v7
	v_fma_f32 v19, v20, v19, -v21
	v_mul_f32_e32 v20, v62, v6
	v_fma_f32 v5, v22, v5, -v18
	v_add_f32_e32 v18, v34, v16
	v_fmac_f32_e32 v4, v61, v6
	v_add_f32_e32 v6, v0, v34
	v_fma_f32 v7, v61, v7, -v20
	v_add_f32_e32 v20, v17, v5
	v_fma_f32 v18, -0.5, v18, v0
	v_sub_f32_e32 v0, v17, v5
	v_add_f32_e32 v6, v6, v16
	v_add_f32_e32 v17, v1, v17
	v_fma_f32 v20, -0.5, v20, v1
	v_sub_f32_e32 v1, v34, v16
	v_fmamk_f32 v16, v0, 0xbf5db3d7, v18
	v_fmac_f32_e32 v18, 0x3f5db3d7, v0
	v_add_f32_e32 v0, v19, v7
	v_add_f32_e32 v17, v17, v5
	;; [unrolled: 1-line block ×4, first 2 shown]
	v_fmamk_f32 v21, v1, 0x3f5db3d7, v20
	v_fmac_f32_e32 v2, -0.5, v0
	v_sub_f32_e32 v0, v3, v4
	v_add_f32_e32 v3, v33, v3
	v_fmac_f32_e32 v33, -0.5, v5
	v_sub_f32_e32 v5, v19, v7
	v_fmac_f32_e32 v20, 0xbf5db3d7, v1
	v_fmamk_f32 v1, v0, 0x3f5db3d7, v2
	v_fmac_f32_e32 v2, 0xbf5db3d7, v0
	v_add_f32_e32 v19, v3, v4
	v_fmamk_f32 v3, v5, 0xbf5db3d7, v33
	v_add_f32_e32 v7, v22, v7
	v_mul_f32_e32 v23, 0xbf5db3d7, v1
	v_mul_f32_e32 v22, 0.5, v1
	v_fmac_f32_e32 v33, 0x3f5db3d7, v5
	v_mul_f32_e32 v24, 0xbf5db3d7, v2
	v_mul_f32_e32 v25, -0.5, v2
	v_fmac_f32_e32 v23, 0.5, v3
	v_fmac_f32_e32 v22, 0x3f5db3d7, v3
	v_add_f32_e32 v0, v6, v19
	v_fmac_f32_e32 v24, -0.5, v33
	v_fmac_f32_e32 v25, 0x3f5db3d7, v33
	v_add_f32_e32 v2, v16, v23
	v_add_f32_e32 v1, v17, v7
	v_add_f32_e32 v3, v21, v22
	v_add_f32_e32 v4, v18, v24
	v_add_f32_e32 v5, v20, v25
	v_sub_f32_e32 v6, v6, v19
	v_sub_f32_e32 v7, v17, v7
	;; [unrolled: 1-line block ×6, first 2 shown]
	ds_write2_b64 v63, v[0:1], v[2:3] offset1:70
	ds_write2_b64 v63, v[4:5], v[6:7] offset0:140 offset1:210
	ds_write2_b64 v32, v[16:17], v[18:19] offset0:24 offset1:94
	s_and_saveexec_b32 s1, s0
	s_cbranch_execz .LBB0_21
; %bb.20:
	v_mul_f32_e32 v1, v11, v28
	v_mul_f32_e32 v0, v15, v54
	;; [unrolled: 1-line block ×5, first 2 shown]
	v_fma_f32 v4, v10, v29, -v1
	v_mul_f32_e32 v1, v60, v30
	v_fma_f32 v0, v14, v55, -v0
	v_mul_f32_e32 v6, v13, v40
	v_fma_f32 v3, v8, v57, -v3
	v_fmac_f32_e32 v2, v8, v56
	v_fma_f32 v9, v59, v31, -v1
	v_mul_f32_e32 v8, v15, v55
	v_mul_f32_e32 v11, v11, v29
	v_add_f32_e32 v7, v0, v4
	v_mul_f32_e32 v13, v13, v41
	v_fmac_f32_e32 v5, v59, v30
	v_fma_f32 v6, v12, v41, -v6
	v_add_f32_e32 v1, v3, v9
	v_fmac_f32_e32 v8, v14, v54
	v_fmac_f32_e32 v11, v10, v28
	;; [unrolled: 1-line block ×3, first 2 shown]
	v_add_f32_e32 v12, v2, v5
	v_fma_f32 v15, -0.5, v1, v6
	v_sub_f32_e32 v1, v2, v5
	v_fma_f32 v16, -0.5, v7, v39
	v_sub_f32_e32 v7, v8, v11
	;; [unrolled: 2-line block ×3, first 2 shown]
	v_fmamk_f32 v14, v1, 0xbf5db3d7, v15
	v_fmac_f32_e32 v15, 0x3f5db3d7, v1
	v_fmamk_f32 v19, v7, 0xbf5db3d7, v16
	v_fmac_f32_e32 v16, 0x3f5db3d7, v7
	v_add_f32_e32 v7, v8, v11
	v_add_f32_e32 v20, v39, v0
	v_add_f32_e32 v3, v6, v3
	v_fmamk_f32 v17, v12, 0x3f5db3d7, v10
	v_fmac_f32_e32 v10, 0xbf5db3d7, v12
	v_mul_f32_e32 v12, 0.5, v15
	v_fma_f32 v21, -0.5, v7, v38
	v_sub_f32_e32 v0, v0, v4
	v_add_f32_e32 v6, v20, v4
	v_add_f32_e32 v20, v3, v9
	v_mul_f32_e32 v15, 0xbf5db3d7, v15
	v_add_f32_e32 v3, v38, v8
	v_add_f32_e32 v2, v13, v2
	v_mul_f32_e32 v18, -0.5, v14
	v_mul_f32_e32 v14, 0xbf5db3d7, v14
	v_fmac_f32_e32 v12, 0x3f5db3d7, v10
	v_fmamk_f32 v22, v0, 0x3f5db3d7, v21
	v_fmac_f32_e32 v21, 0xbf5db3d7, v0
	v_fmac_f32_e32 v15, 0.5, v10
	v_add_f32_e32 v10, v3, v11
	v_add_f32_e32 v13, v2, v5
	v_fmac_f32_e32 v18, 0x3f5db3d7, v17
	v_fmac_f32_e32 v14, -0.5, v17
	v_add_f32_e32 v9, v16, v12
	v_add_f32_e32 v11, v6, v20
	v_sub_f32_e32 v4, v10, v13
	v_add_f32_e32 v8, v21, v15
	v_add_f32_e32 v10, v10, v13
	v_sub_f32_e32 v3, v16, v12
	v_sub_f32_e32 v5, v6, v20
	v_add_f32_e32 v7, v19, v18
	v_add_f32_e32 v6, v22, v14
	v_add_nc_u32_e32 v12, 0x400, v63
	v_sub_f32_e32 v1, v19, v18
	v_sub_f32_e32 v0, v22, v14
	;; [unrolled: 1-line block ×3, first 2 shown]
	v_add_nc_u32_e32 v13, 0x800, v63
	ds_write2_b64 v63, v[10:11], v[8:9] offset0:60 offset1:130
	ds_write2_b64 v12, v[6:7], v[4:5] offset0:72 offset1:142
	;; [unrolled: 1-line block ×3, first 2 shown]
.LBB0_21:
	s_or_b32 exec_lo, exec_lo, s1
	s_waitcnt lgkmcnt(0)
	s_barrier
	buffer_gl0_inv
	s_and_b32 exec_lo, exec_lo, vcc_lo
	s_cbranch_execz .LBB0_23
; %bb.22:
	v_add_co_u32 v0, s0, s14, v63
	v_add_co_ci_u32_e64 v1, null, s15, 0, s0
	s_clause 0x6
	global_load_dwordx2 v[20:21], v63, s[14:15]
	global_load_dwordx2 v[22:23], v63, s[14:15] offset:336
	global_load_dwordx2 v[24:25], v63, s[14:15] offset:672
	;; [unrolled: 1-line block ×6, first 2 shown]
	v_add_co_u32 v0, vcc_lo, 0x800, v0
	v_add_co_ci_u32_e32 v1, vcc_lo, 0, v1, vcc_lo
	v_mad_u64_u32 v[8:9], null, s6, v58, 0
	v_mad_u64_u32 v[12:13], null, s4, v64, 0
	s_clause 0x2
	global_load_dwordx2 v[34:35], v[0:1], off offset:304
	global_load_dwordx2 v[36:37], v[0:1], off offset:640
	;; [unrolled: 1-line block ×3, first 2 shown]
	v_add_nc_u32_e32 v16, 0x400, v63
	v_add_nc_u32_e32 v17, 0x800, v63
	s_mov_b32 s0, 0x13813814
	v_mov_b32_e32 v0, v9
	s_mov_b32 s1, 0x3f638138
	v_mov_b32_e32 v1, v13
	s_mul_i32 s2, s5, 0x150
	s_mul_hi_u32 s3, s4, 0x150
	s_mulk_i32 s4, 0x150
	s_add_i32 s3, s3, s2
	v_mad_u64_u32 v[4:5], null, s7, v58, v[0:1]
	v_mad_u64_u32 v[10:11], null, s5, v64, v[1:2]
	ds_read2_b64 v[0:3], v63 offset1:210
	v_mov_b32_e32 v9, v4
	ds_read2_b64 v[4:7], v63 offset0:42 offset1:84
	v_mov_b32_e32 v13, v10
	v_lshlrev_b64 v[14:15], 3, v[8:9]
	ds_read2_b64 v[8:11], v63 offset0:126 offset1:168
	v_lshlrev_b64 v[12:13], 3, v[12:13]
	v_add_co_u32 v14, vcc_lo, s12, v14
	v_add_co_ci_u32_e32 v15, vcc_lo, s13, v15, vcc_lo
	v_add_co_u32 v40, vcc_lo, v14, v12
	v_add_co_ci_u32_e32 v41, vcc_lo, v15, v13, vcc_lo
	ds_read2_b64 v[12:15], v16 offset0:124 offset1:166
	ds_read2_b64 v[16:19], v17 offset0:80 offset1:122
	v_add_co_u32 v42, vcc_lo, v40, s4
	v_add_co_ci_u32_e32 v43, vcc_lo, s3, v41, vcc_lo
	v_add_co_u32 v44, vcc_lo, v42, s4
	v_add_co_ci_u32_e32 v45, vcc_lo, s3, v43, vcc_lo
	v_add_co_u32 v46, vcc_lo, v44, s4
	v_add_co_ci_u32_e32 v47, vcc_lo, s3, v45, vcc_lo
	v_add_co_u32 v48, vcc_lo, v46, s4
	v_add_co_ci_u32_e32 v49, vcc_lo, s3, v47, vcc_lo
	s_waitcnt vmcnt(9) lgkmcnt(4)
	v_mul_f32_e32 v50, v1, v21
	s_waitcnt vmcnt(8) lgkmcnt(3)
	v_mul_f32_e32 v51, v5, v23
	s_waitcnt vmcnt(7)
	v_mul_f32_e32 v52, v7, v25
	v_mul_f32_e32 v21, v0, v21
	;; [unrolled: 1-line block ×4, first 2 shown]
	v_fmac_f32_e32 v50, v0, v20
	s_waitcnt vmcnt(6) lgkmcnt(2)
	v_mul_f32_e32 v53, v9, v27
	v_mul_f32_e32 v27, v8, v27
	v_fmac_f32_e32 v51, v4, v22
	s_waitcnt vmcnt(5)
	v_mul_f32_e32 v54, v11, v29
	v_mul_f32_e32 v29, v10, v29
	v_fmac_f32_e32 v52, v6, v24
	s_waitcnt vmcnt(4)
	v_mul_f32_e32 v55, v3, v31
	v_mul_f32_e32 v31, v2, v31
	v_fma_f32 v20, v20, v1, -v21
	s_waitcnt vmcnt(3) lgkmcnt(1)
	v_mul_f32_e32 v56, v13, v33
	v_mul_f32_e32 v33, v12, v33
	v_fma_f32 v21, v22, v5, -v23
	v_fma_f32 v22, v24, v7, -v25
	v_cvt_f64_f32_e32 v[0:1], v50
	s_waitcnt vmcnt(2)
	v_mul_f32_e32 v50, v15, v35
	v_mul_f32_e32 v35, v14, v35
	v_fmac_f32_e32 v53, v8, v26
	v_fma_f32 v23, v26, v9, -v27
	v_cvt_f64_f32_e32 v[4:5], v51
	s_waitcnt vmcnt(1) lgkmcnt(0)
	v_mul_f32_e32 v51, v17, v37
	v_mul_f32_e32 v37, v16, v37
	v_fmac_f32_e32 v54, v10, v28
	v_fma_f32 v24, v28, v11, -v29
	v_cvt_f64_f32_e32 v[8:9], v52
	s_waitcnt vmcnt(0)
	v_mul_f32_e32 v52, v19, v39
	v_mul_f32_e32 v39, v18, v39
	v_fmac_f32_e32 v55, v2, v30
	v_fma_f32 v28, v30, v3, -v31
	v_cvt_f64_f32_e32 v[2:3], v20
	v_fmac_f32_e32 v56, v12, v32
	v_fma_f32 v32, v32, v13, -v33
	v_cvt_f64_f32_e32 v[6:7], v21
	v_cvt_f64_f32_e32 v[10:11], v22
	v_fmac_f32_e32 v50, v14, v34
	v_fma_f32 v34, v34, v15, -v35
	v_cvt_f64_f32_e32 v[12:13], v53
	;; [unrolled: 4-line block ×4, first 2 shown]
	v_cvt_f64_f32_e32 v[28:29], v28
	v_cvt_f64_f32_e32 v[30:31], v56
	;; [unrolled: 1-line block ×9, first 2 shown]
	v_mul_f64 v[0:1], v[0:1], s[0:1]
	v_mul_f64 v[2:3], v[2:3], s[0:1]
	;; [unrolled: 1-line block ×10, first 2 shown]
	v_add_co_u32 v50, vcc_lo, v48, s4
	v_mul_f64 v[26:27], v[26:27], s[0:1]
	v_mul_f64 v[28:29], v[28:29], s[0:1]
	;; [unrolled: 1-line block ×10, first 2 shown]
	v_cvt_f32_f64_e32 v0, v[0:1]
	v_cvt_f32_f64_e32 v1, v[2:3]
	;; [unrolled: 1-line block ×4, first 2 shown]
	v_add_co_ci_u32_e32 v51, vcc_lo, s3, v49, vcc_lo
	v_cvt_f32_f64_e32 v4, v[8:9]
	v_cvt_f32_f64_e32 v5, v[10:11]
	;; [unrolled: 1-line block ×6, first 2 shown]
	v_add_co_u32 v52, vcc_lo, v50, s4
	v_cvt_f32_f64_e32 v10, v[26:27]
	v_cvt_f32_f64_e32 v11, v[28:29]
	v_cvt_f32_f64_e32 v12, v[30:31]
	v_cvt_f32_f64_e32 v13, v[32:33]
	v_add_co_ci_u32_e32 v53, vcc_lo, s3, v51, vcc_lo
	v_cvt_f32_f64_e32 v14, v[14:15]
	v_cvt_f32_f64_e32 v15, v[16:17]
	;; [unrolled: 1-line block ×6, first 2 shown]
	v_add_co_u32 v20, vcc_lo, v52, s4
	v_add_co_ci_u32_e32 v21, vcc_lo, s3, v53, vcc_lo
	v_add_co_u32 v22, vcc_lo, v20, s4
	v_add_co_ci_u32_e32 v23, vcc_lo, s3, v21, vcc_lo
	;; [unrolled: 2-line block ×3, first 2 shown]
	global_store_dwordx2 v[40:41], v[0:1], off
	global_store_dwordx2 v[42:43], v[2:3], off
	;; [unrolled: 1-line block ×10, first 2 shown]
.LBB0_23:
	s_endpgm
	.section	.rodata,"a",@progbits
	.p2align	6, 0x0
	.amdhsa_kernel bluestein_single_back_len420_dim1_sp_op_CI_CI
		.amdhsa_group_segment_fixed_size 3360
		.amdhsa_private_segment_fixed_size 0
		.amdhsa_kernarg_size 104
		.amdhsa_user_sgpr_count 6
		.amdhsa_user_sgpr_private_segment_buffer 1
		.amdhsa_user_sgpr_dispatch_ptr 0
		.amdhsa_user_sgpr_queue_ptr 0
		.amdhsa_user_sgpr_kernarg_segment_ptr 1
		.amdhsa_user_sgpr_dispatch_id 0
		.amdhsa_user_sgpr_flat_scratch_init 0
		.amdhsa_user_sgpr_private_segment_size 0
		.amdhsa_wavefront_size32 1
		.amdhsa_uses_dynamic_stack 0
		.amdhsa_system_sgpr_private_segment_wavefront_offset 0
		.amdhsa_system_sgpr_workgroup_id_x 1
		.amdhsa_system_sgpr_workgroup_id_y 0
		.amdhsa_system_sgpr_workgroup_id_z 0
		.amdhsa_system_sgpr_workgroup_info 0
		.amdhsa_system_vgpr_workitem_id 0
		.amdhsa_next_free_vgpr 95
		.amdhsa_next_free_sgpr 16
		.amdhsa_reserve_vcc 1
		.amdhsa_reserve_flat_scratch 0
		.amdhsa_float_round_mode_32 0
		.amdhsa_float_round_mode_16_64 0
		.amdhsa_float_denorm_mode_32 3
		.amdhsa_float_denorm_mode_16_64 3
		.amdhsa_dx10_clamp 1
		.amdhsa_ieee_mode 1
		.amdhsa_fp16_overflow 0
		.amdhsa_workgroup_processor_mode 1
		.amdhsa_memory_ordered 1
		.amdhsa_forward_progress 0
		.amdhsa_shared_vgpr_count 0
		.amdhsa_exception_fp_ieee_invalid_op 0
		.amdhsa_exception_fp_denorm_src 0
		.amdhsa_exception_fp_ieee_div_zero 0
		.amdhsa_exception_fp_ieee_overflow 0
		.amdhsa_exception_fp_ieee_underflow 0
		.amdhsa_exception_fp_ieee_inexact 0
		.amdhsa_exception_int_div_zero 0
	.end_amdhsa_kernel
	.text
.Lfunc_end0:
	.size	bluestein_single_back_len420_dim1_sp_op_CI_CI, .Lfunc_end0-bluestein_single_back_len420_dim1_sp_op_CI_CI
                                        ; -- End function
	.section	.AMDGPU.csdata,"",@progbits
; Kernel info:
; codeLenInByte = 8144
; NumSgprs: 18
; NumVgprs: 95
; ScratchSize: 0
; MemoryBound: 0
; FloatMode: 240
; IeeeMode: 1
; LDSByteSize: 3360 bytes/workgroup (compile time only)
; SGPRBlocks: 2
; VGPRBlocks: 11
; NumSGPRsForWavesPerEU: 18
; NumVGPRsForWavesPerEU: 95
; Occupancy: 10
; WaveLimiterHint : 1
; COMPUTE_PGM_RSRC2:SCRATCH_EN: 0
; COMPUTE_PGM_RSRC2:USER_SGPR: 6
; COMPUTE_PGM_RSRC2:TRAP_HANDLER: 0
; COMPUTE_PGM_RSRC2:TGID_X_EN: 1
; COMPUTE_PGM_RSRC2:TGID_Y_EN: 0
; COMPUTE_PGM_RSRC2:TGID_Z_EN: 0
; COMPUTE_PGM_RSRC2:TIDIG_COMP_CNT: 0
	.text
	.p2alignl 6, 3214868480
	.fill 48, 4, 3214868480
	.type	__hip_cuid_8bea8b73a4e2d10e,@object ; @__hip_cuid_8bea8b73a4e2d10e
	.section	.bss,"aw",@nobits
	.globl	__hip_cuid_8bea8b73a4e2d10e
__hip_cuid_8bea8b73a4e2d10e:
	.byte	0                               ; 0x0
	.size	__hip_cuid_8bea8b73a4e2d10e, 1

	.ident	"AMD clang version 19.0.0git (https://github.com/RadeonOpenCompute/llvm-project roc-6.4.0 25133 c7fe45cf4b819c5991fe208aaa96edf142730f1d)"
	.section	".note.GNU-stack","",@progbits
	.addrsig
	.addrsig_sym __hip_cuid_8bea8b73a4e2d10e
	.amdgpu_metadata
---
amdhsa.kernels:
  - .args:
      - .actual_access:  read_only
        .address_space:  global
        .offset:         0
        .size:           8
        .value_kind:     global_buffer
      - .actual_access:  read_only
        .address_space:  global
        .offset:         8
        .size:           8
        .value_kind:     global_buffer
      - .actual_access:  read_only
        .address_space:  global
        .offset:         16
        .size:           8
        .value_kind:     global_buffer
      - .actual_access:  read_only
        .address_space:  global
        .offset:         24
        .size:           8
        .value_kind:     global_buffer
      - .actual_access:  read_only
        .address_space:  global
        .offset:         32
        .size:           8
        .value_kind:     global_buffer
      - .offset:         40
        .size:           8
        .value_kind:     by_value
      - .address_space:  global
        .offset:         48
        .size:           8
        .value_kind:     global_buffer
      - .address_space:  global
        .offset:         56
        .size:           8
        .value_kind:     global_buffer
      - .address_space:  global
        .offset:         64
        .size:           8
        .value_kind:     global_buffer
      - .address_space:  global
        .offset:         72
        .size:           8
        .value_kind:     global_buffer
      - .offset:         80
        .size:           4
        .value_kind:     by_value
      - .address_space:  global
        .offset:         88
        .size:           8
        .value_kind:     global_buffer
      - .address_space:  global
        .offset:         96
        .size:           8
        .value_kind:     global_buffer
    .group_segment_fixed_size: 3360
    .kernarg_segment_align: 8
    .kernarg_segment_size: 104
    .language:       OpenCL C
    .language_version:
      - 2
      - 0
    .max_flat_workgroup_size: 60
    .name:           bluestein_single_back_len420_dim1_sp_op_CI_CI
    .private_segment_fixed_size: 0
    .sgpr_count:     18
    .sgpr_spill_count: 0
    .symbol:         bluestein_single_back_len420_dim1_sp_op_CI_CI.kd
    .uniform_work_group_size: 1
    .uses_dynamic_stack: false
    .vgpr_count:     95
    .vgpr_spill_count: 0
    .wavefront_size: 32
    .workgroup_processor_mode: 1
amdhsa.target:   amdgcn-amd-amdhsa--gfx1030
amdhsa.version:
  - 1
  - 2
...

	.end_amdgpu_metadata
